;; amdgpu-corpus repo=ROCm/rocFFT kind=compiled arch=gfx1201 opt=O3
	.text
	.amdgcn_target "amdgcn-amd-amdhsa--gfx1201"
	.amdhsa_code_object_version 6
	.protected	bluestein_single_back_len324_dim1_sp_op_CI_CI ; -- Begin function bluestein_single_back_len324_dim1_sp_op_CI_CI
	.globl	bluestein_single_back_len324_dim1_sp_op_CI_CI
	.p2align	8
	.type	bluestein_single_back_len324_dim1_sp_op_CI_CI,@function
bluestein_single_back_len324_dim1_sp_op_CI_CI: ; @bluestein_single_back_len324_dim1_sp_op_CI_CI
; %bb.0:
	s_load_b128 s[16:19], s[0:1], 0x28
	v_mul_u32_u24_e32 v1, 0x4be, v0
	s_mov_b32 s2, exec_lo
	v_mov_b32_e32 v25, 0
	s_delay_alu instid0(VALU_DEP_2) | instskip(NEXT) | instid1(VALU_DEP_1)
	v_lshrrev_b32_e32 v1, 16, v1
	v_add_nc_u32_e32 v24, ttmp9, v1
	s_wait_kmcnt 0x0
	s_delay_alu instid0(VALU_DEP_1)
	v_cmpx_gt_u64_e64 s[16:17], v[24:25]
	s_cbranch_execz .LBB0_2
; %bb.1:
	s_clause 0x1
	s_load_b128 s[4:7], s[0:1], 0x18
	s_load_b128 s[8:11], s[0:1], 0x0
	v_mul_lo_u16 v1, v1, 54
	s_load_b64 s[0:1], s[0:1], 0x38
	s_delay_alu instid0(VALU_DEP_1) | instskip(NEXT) | instid1(VALU_DEP_1)
	v_sub_nc_u16 v20, v0, v1
	v_and_b32_e32 v41, 0xffff, v20
	v_and_b32_e32 v16, 0xff, v20
	s_delay_alu instid0(VALU_DEP_2) | instskip(NEXT) | instid1(VALU_DEP_2)
	v_lshlrev_b32_e32 v42, 3, v41
	v_mul_lo_u16 v12, 0xab, v16
	s_wait_kmcnt 0x0
	s_load_b128 s[12:15], s[4:5], 0x0
	s_clause 0x2
	global_load_b64 v[25:26], v42, s[8:9]
	global_load_b64 v[27:28], v42, s[8:9] offset:1728
	global_load_b64 v[29:30], v42, s[8:9] offset:1296
	v_lshrrev_b16 v17, 9, v12
	s_delay_alu instid0(VALU_DEP_1)
	v_mul_lo_u16 v18, v17, 3
	s_wait_kmcnt 0x0
	v_mad_co_u64_u32 v[0:1], null, s14, v24, 0
	v_mad_co_u64_u32 v[2:3], null, s12, v41, 0
	s_mul_u64 s[2:3], s[12:13], 0x360
	s_mul_i32 s4, s13, 0xfffffaf0
	s_delay_alu instid0(SALU_CYCLE_1) | instskip(NEXT) | instid1(VALU_DEP_1)
	s_sub_co_i32 s4, s4, s12
	v_mad_co_u64_u32 v[4:5], null, s15, v24, v[1:2]
	s_delay_alu instid0(VALU_DEP_1) | instskip(SKIP_1) | instid1(VALU_DEP_1)
	v_mad_co_u64_u32 v[5:6], null, s13, v41, v[3:4]
	v_mov_b32_e32 v1, v4
	v_lshlrev_b64_e32 v[0:1], 3, v[0:1]
	s_delay_alu instid0(VALU_DEP_3) | instskip(NEXT) | instid1(VALU_DEP_1)
	v_mov_b32_e32 v3, v5
	v_lshlrev_b64_e32 v[2:3], 3, v[2:3]
	s_delay_alu instid0(VALU_DEP_3) | instskip(NEXT) | instid1(VALU_DEP_4)
	v_add_co_u32 v0, vcc_lo, s18, v0
	v_add_co_ci_u32_e32 v1, vcc_lo, s19, v1, vcc_lo
	s_delay_alu instid0(VALU_DEP_2) | instskip(SKIP_1) | instid1(VALU_DEP_2)
	v_add_co_u32 v0, vcc_lo, v0, v2
	s_wait_alu 0xfffd
	v_add_co_ci_u32_e32 v1, vcc_lo, v1, v3, vcc_lo
	s_delay_alu instid0(VALU_DEP_2) | instskip(SKIP_1) | instid1(VALU_DEP_2)
	v_add_co_u32 v2, vcc_lo, v0, s2
	s_wait_alu 0xfffd
	v_add_co_ci_u32_e32 v3, vcc_lo, s3, v1, vcc_lo
	global_load_b64 v[0:1], v[0:1], off
	v_add_co_u32 v4, vcc_lo, v2, s2
	s_wait_alu 0xfffd
	v_add_co_ci_u32_e32 v5, vcc_lo, s3, v3, vcc_lo
	s_clause 0x1
	global_load_b64 v[33:34], v42, s[8:9] offset:864
	global_load_b64 v[31:32], v42, s[8:9] offset:432
	v_mad_co_u64_u32 v[6:7], null, 0xfffffaf0, s12, v[4:5]
	s_clause 0x1
	global_load_b64 v[2:3], v[2:3], off
	global_load_b64 v[4:5], v[4:5], off
	v_add_co_u32 v8, vcc_lo, v6, s2
	s_wait_loadcnt 0x4
	v_dual_mul_f32 v12, v1, v26 :: v_dual_add_nc_u32 v7, s4, v7
	v_mul_f32_e32 v13, v0, v26
	v_add_nc_u32_e32 v47, 54, v41
	s_delay_alu instid0(VALU_DEP_3)
	v_fmac_f32_e32 v12, v0, v25
	s_wait_alu 0xfffd
	v_add_co_ci_u32_e32 v9, vcc_lo, s3, v7, vcc_lo
	global_load_b64 v[6:7], v[6:7], off
	v_add_co_u32 v10, vcc_lo, v8, s2
	s_wait_loadcnt 0x1
	v_mul_f32_e32 v14, v5, v28
	s_wait_alu 0xfffd
	v_add_co_ci_u32_e32 v11, vcc_lo, s3, v9, vcc_lo
	global_load_b64 v[8:9], v[8:9], off
	global_load_b64 v[35:36], v42, s[8:9] offset:2160
	global_load_b64 v[10:11], v[10:11], off
	v_dual_mul_f32 v0, v3, v34 :: v_dual_mul_f32 v15, v4, v28
	v_fma_f32 v13, v1, v25, -v13
	v_mul_f32_e32 v1, v2, v34
	s_delay_alu instid0(VALU_DEP_3)
	v_dual_fmac_f32 v0, v2, v33 :: v_dual_add_nc_u32 v43, 0x400, v42
	v_fmac_f32_e32 v14, v4, v27
	v_fma_f32 v15, v5, v27, -v15
	s_load_b128 s[4:7], s[6:7], 0x0
	s_add_nc_u64 s[2:3], s[8:9], 0xa20
	s_wait_loadcnt 0x3
	v_mul_f32_e32 v2, v7, v32
	v_fma_f32 v1, v3, v33, -v1
	v_mul_f32_e32 v3, v6, v32
	s_wait_loadcnt 0x2
	s_delay_alu instid0(VALU_DEP_3)
	v_dual_fmac_f32 v2, v6, v31 :: v_dual_mul_f32 v5, v8, v30
	s_wait_loadcnt 0x0
	v_dual_mul_f32 v4, v9, v30 :: v_dual_mul_f32 v19, v10, v36
	v_mul_f32_e32 v6, v11, v36
	v_fma_f32 v3, v7, v31, -v3
	v_fma_f32 v5, v9, v29, -v5
	s_delay_alu instid0(VALU_DEP_4)
	v_fmac_f32_e32 v4, v8, v29
	v_fma_f32 v7, v11, v35, -v19
	v_fmac_f32_e32 v6, v10, v35
	ds_store_b64 v42, v[0:1] offset:864
	ds_store_b64 v42, v[14:15] offset:1728
	ds_store_2addr_b64 v42, v[12:13], v[2:3] offset1:54
	ds_store_b64 v42, v[4:5] offset:1296
	ds_store_b64 v42, v[6:7] offset:2160
	global_wb scope:SCOPE_SE
	s_wait_dscnt 0x0
	s_wait_kmcnt 0x0
	s_barrier_signal -1
	s_barrier_wait -1
	global_inv scope:SCOPE_SE
	ds_load_2addr_b64 v[0:3], v42 offset1:54
	ds_load_2addr_b64 v[4:7], v42 offset0:108 offset1:162
	ds_load_2addr_b64 v[8:11], v43 offset0:88 offset1:142
	v_mul_lo_u16 v12, v20, 3
	v_sub_nc_u16 v13, v20, v18
	v_mul_u32_u24_e32 v14, 3, v47
	global_wb scope:SCOPE_SE
	s_wait_dscnt 0x0
	s_barrier_signal -1
	v_and_b32_e32 v12, 0xffff, v12
	v_and_b32_e32 v21, 0xff, v13
	v_lshlrev_b32_e32 v45, 3, v14
	s_barrier_wait -1
	global_inv scope:SCOPE_SE
	v_add_f32_e32 v19, v1, v5
	v_dual_add_f32 v15, v4, v8 :: v_dual_sub_f32 v18, v5, v9
	v_dual_add_f32 v22, v5, v9 :: v_dual_sub_f32 v23, v4, v8
	s_delay_alu instid0(VALU_DEP_3)
	v_dual_add_f32 v38, v6, v10 :: v_dual_add_f32 v5, v19, v9
	v_sub_f32_e32 v48, v6, v10
	v_add_f32_e32 v44, v7, v11
	v_dual_add_f32 v14, v0, v4 :: v_dual_sub_f32 v39, v7, v11
	v_add_f32_e32 v40, v3, v7
	v_fma_f32 v0, -0.5, v15, v0
	s_delay_alu instid0(VALU_DEP_4) | instskip(SKIP_4) | instid1(VALU_DEP_4)
	v_fmac_f32_e32 v3, -0.5, v44
	v_fma_f32 v1, -0.5, v22, v1
	v_dual_add_f32 v37, v2, v6 :: v_dual_lshlrev_b32 v46, 3, v12
	v_mad_co_u64_u32 v[12:13], null, v21, 40, s[10:11]
	v_fma_f32 v2, -0.5, v38, v2
	v_dual_add_f32 v4, v14, v8 :: v_dual_fmamk_f32 v9, v23, 0xbf5db3d7, v1
	v_dual_add_f32 v7, v40, v11 :: v_dual_fmamk_f32 v8, v18, 0x3f5db3d7, v0
	v_dual_add_f32 v6, v37, v10 :: v_dual_fmac_f32 v1, 0x3f5db3d7, v23
	v_fmac_f32_e32 v0, 0xbf5db3d7, v18
	v_fmamk_f32 v10, v39, 0x3f5db3d7, v2
	v_dual_fmamk_f32 v11, v48, 0xbf5db3d7, v3 :: v_dual_fmac_f32 v2, 0xbf5db3d7, v39
	v_fmac_f32_e32 v3, 0x3f5db3d7, v48
	ds_store_2addr_b64 v46, v[4:5], v[8:9] offset1:1
	ds_store_b64 v46, v[0:1] offset:16
	ds_store_2addr_b64 v45, v[6:7], v[10:11] offset1:1
	ds_store_b64 v45, v[2:3] offset:16
	global_wb scope:SCOPE_SE
	s_wait_dscnt 0x0
	s_barrier_signal -1
	s_barrier_wait -1
	global_inv scope:SCOPE_SE
	s_clause 0x2
	global_load_b128 v[4:7], v[12:13], off
	global_load_b128 v[0:3], v[12:13], off offset:16
	global_load_b64 v[37:38], v[12:13], off offset:32
	v_mul_lo_u16 v8, v16, 57
	ds_load_2addr_b64 v[12:15], v42 offset0:108 offset1:162
	v_and_b32_e32 v23, 0xffff, v17
	ds_load_2addr_b64 v[16:19], v43 offset0:88 offset1:142
	v_lshrrev_b16 v52, 10, v8
	ds_load_2addr_b64 v[8:11], v42 offset1:54
	global_wb scope:SCOPE_SE
	s_wait_loadcnt_dscnt 0x0
	s_barrier_signal -1
	s_barrier_wait -1
	v_mul_lo_u16 v22, v52, 18
	global_inv scope:SCOPE_SE
	v_and_b32_e32 v52, 0xffff, v52
	v_sub_nc_u16 v20, v20, v22
	s_delay_alu instid0(VALU_DEP_2) | instskip(NEXT) | instid1(VALU_DEP_2)
	v_mul_u32_u24_e32 v52, 0x6c, v52
	v_dual_mul_f32 v40, v12, v7 :: v_dual_and_b32 v53, 0xff, v20
	v_mul_u32_u24_e32 v22, 18, v23
	v_mul_f32_e32 v39, v13, v7
	v_dual_mul_f32 v50, v17, v3 :: v_dual_mul_f32 v55, v18, v38
	v_mul_f32_e32 v23, v10, v5
	s_delay_alu instid0(VALU_DEP_4) | instskip(SKIP_4) | instid1(VALU_DEP_4)
	v_add_lshl_u32 v44, v22, v21, 3
	v_mul_f32_e32 v22, v11, v5
	v_dual_mul_f32 v48, v15, v1 :: v_dual_mul_f32 v51, v16, v3
	v_mul_f32_e32 v49, v14, v1
	v_dual_fmac_f32 v23, v11, v4 :: v_dual_fmac_f32 v40, v13, v6
	v_fma_f32 v22, v10, v4, -v22
	v_fma_f32 v10, v12, v6, -v39
	;; [unrolled: 1-line block ×3, first 2 shown]
	v_mul_f32_e32 v54, v19, v38
	v_fma_f32 v11, v14, v0, -v48
	s_delay_alu instid0(VALU_DEP_4) | instskip(SKIP_4) | instid1(VALU_DEP_4)
	v_dual_fmac_f32 v49, v15, v0 :: v_dual_add_f32 v14, v8, v10
	v_fmac_f32_e32 v51, v17, v2
	v_add_f32_e32 v15, v10, v12
	v_sub_f32_e32 v10, v10, v12
	v_fma_f32 v13, v18, v37, -v54
	v_dual_fmac_f32 v55, v19, v37 :: v_dual_sub_f32 v16, v40, v51
	v_dual_add_f32 v17, v9, v40 :: v_dual_add_f32 v18, v40, v51
	v_dual_add_f32 v19, v22, v11 :: v_dual_add_f32 v48, v23, v49
	s_delay_alu instid0(VALU_DEP_3) | instskip(SKIP_1) | instid1(VALU_DEP_4)
	v_dual_add_f32 v39, v11, v13 :: v_dual_sub_f32 v40, v49, v55
	v_dual_add_f32 v49, v49, v55 :: v_dual_add_f32 v12, v14, v12
	v_dual_sub_f32 v11, v11, v13 :: v_dual_add_f32 v14, v17, v51
	v_fma_f32 v50, -0.5, v15, v8
	v_fma_f32 v51, -0.5, v18, v9
	v_dual_add_f32 v13, v19, v13 :: v_dual_fmac_f32 v22, -0.5, v39
	v_fmac_f32_e32 v23, -0.5, v49
	v_add_f32_e32 v15, v48, v55
	v_fmamk_f32 v17, v16, 0x3f5db3d7, v50
	v_dual_fmac_f32 v50, 0xbf5db3d7, v16 :: v_dual_fmamk_f32 v19, v10, 0xbf5db3d7, v51
	v_fmamk_f32 v16, v40, 0x3f5db3d7, v22
	v_fmac_f32_e32 v22, 0xbf5db3d7, v40
	v_dual_fmamk_f32 v18, v11, 0xbf5db3d7, v23 :: v_dual_add_f32 v9, v14, v15
	v_fmac_f32_e32 v23, 0x3f5db3d7, v11
	v_dual_fmac_f32 v51, 0x3f5db3d7, v10 :: v_dual_add_f32 v8, v12, v13
	s_delay_alu instid0(VALU_DEP_4) | instskip(NEXT) | instid1(VALU_DEP_4)
	v_mul_f32_e32 v40, -0.5, v22
	v_dual_sub_f32 v10, v12, v13 :: v_dual_mul_f32 v39, 0x3f5db3d7, v18
	s_delay_alu instid0(VALU_DEP_4) | instskip(NEXT) | instid1(VALU_DEP_3)
	v_dual_mul_f32 v48, 0xbf5db3d7, v16 :: v_dual_mul_f32 v49, -0.5, v23
	v_fmac_f32_e32 v40, 0x3f5db3d7, v23
	v_mad_co_u64_u32 v[20:21], null, v53, 40, s[10:11]
	s_delay_alu instid0(VALU_DEP_3) | instskip(NEXT) | instid1(VALU_DEP_4)
	v_dual_fmac_f32 v39, 0.5, v16 :: v_dual_fmac_f32 v48, 0.5, v18
	v_fmac_f32_e32 v49, 0xbf5db3d7, v22
	v_dual_sub_f32 v11, v14, v15 :: v_dual_lshlrev_b32 v54, 4, v41
	s_delay_alu instid0(VALU_DEP_3) | instskip(SKIP_1) | instid1(VALU_DEP_4)
	v_dual_add_f32 v12, v17, v39 :: v_dual_add_f32 v13, v19, v48
	v_sub_f32_e32 v16, v17, v39
	v_dual_add_f32 v14, v50, v40 :: v_dual_add_f32 v15, v51, v49
	v_sub_f32_e32 v18, v50, v40
	v_sub_f32_e32 v17, v19, v48
	;; [unrolled: 1-line block ×3, first 2 shown]
	ds_store_2addr_b64 v44, v[8:9], v[12:13] offset1:3
	ds_store_2addr_b64 v44, v[14:15], v[10:11] offset0:6 offset1:9
	ds_store_2addr_b64 v44, v[16:17], v[18:19] offset0:12 offset1:15
	global_wb scope:SCOPE_SE
	s_wait_dscnt 0x0
	s_barrier_signal -1
	s_barrier_wait -1
	global_inv scope:SCOPE_SE
	s_clause 0x2
	global_load_b128 v[12:15], v[20:21], off offset:120
	global_load_b128 v[8:11], v[20:21], off offset:136
	global_load_b64 v[39:40], v[20:21], off offset:152
	ds_load_2addr_b64 v[16:19], v42 offset1:54
	ds_load_2addr_b64 v[20:23], v42 offset0:108 offset1:162
	ds_load_2addr_b64 v[48:51], v43 offset0:88 offset1:142
	v_lshlrev_b32_e32 v55, 4, v47
	v_add_lshl_u32 v47, v52, v53, 3
	global_wb scope:SCOPE_SE
	s_wait_loadcnt_dscnt 0x0
	s_barrier_signal -1
	s_barrier_wait -1
	global_inv scope:SCOPE_SE
	v_mul_f32_e32 v52, v19, v13
	v_dual_mul_f32 v53, v18, v13 :: v_dual_mul_f32 v56, v21, v15
	v_dual_mul_f32 v57, v20, v15 :: v_dual_mul_f32 v58, v23, v9
	;; [unrolled: 1-line block ×4, first 2 shown]
	v_fma_f32 v52, v18, v12, -v52
	v_fma_f32 v18, v20, v14, -v56
	v_mul_f32_e32 v63, v50, v40
	v_fma_f32 v20, v48, v10, -v60
	v_fmac_f32_e32 v57, v21, v14
	v_fma_f32 v21, v50, v39, -v62
	v_fmac_f32_e32 v61, v49, v10
	v_fmac_f32_e32 v53, v19, v12
	v_fma_f32 v19, v22, v8, -v58
	v_dual_add_f32 v22, v16, v18 :: v_dual_fmac_f32 v63, v51, v39
	s_delay_alu instid0(VALU_DEP_2)
	v_add_f32_e32 v56, v19, v21
	v_fmac_f32_e32 v59, v23, v8
	v_add_f32_e32 v23, v18, v20
	v_sub_f32_e32 v18, v18, v20
	v_sub_f32_e32 v48, v57, v61
	v_add_f32_e32 v49, v17, v57
	v_dual_add_f32 v50, v57, v61 :: v_dual_add_f32 v51, v52, v19
	v_add_f32_e32 v58, v53, v59
	v_add_f32_e32 v20, v22, v20
	v_fma_f32 v60, -0.5, v23, v16
	v_dual_sub_f32 v57, v59, v63 :: v_dual_fmac_f32 v52, -0.5, v56
	v_add_f32_e32 v59, v59, v63
	v_sub_f32_e32 v19, v19, v21
	s_delay_alu instid0(VALU_DEP_4) | instskip(SKIP_1) | instid1(VALU_DEP_4)
	v_dual_add_f32 v22, v49, v61 :: v_dual_fmamk_f32 v49, v48, 0x3f5db3d7, v60
	v_fmac_f32_e32 v60, 0xbf5db3d7, v48
	v_dual_fmamk_f32 v48, v57, 0x3f5db3d7, v52 :: v_dual_fmac_f32 v53, -0.5, v59
	v_fmac_f32_e32 v52, 0xbf5db3d7, v57
	v_fma_f32 v61, -0.5, v50, v17
	v_add_f32_e32 v23, v58, v63
	s_delay_alu instid0(VALU_DEP_4) | instskip(NEXT) | instid1(VALU_DEP_4)
	v_dual_add_f32 v21, v51, v21 :: v_dual_mul_f32 v58, 0xbf5db3d7, v48
	v_dual_fmamk_f32 v50, v19, 0xbf5db3d7, v53 :: v_dual_mul_f32 v57, -0.5, v52
	s_delay_alu instid0(VALU_DEP_2) | instskip(NEXT) | instid1(VALU_DEP_2)
	v_dual_fmamk_f32 v51, v18, 0xbf5db3d7, v61 :: v_dual_add_f32 v16, v20, v21
	v_dual_add_f32 v17, v22, v23 :: v_dual_fmac_f32 v58, 0.5, v50
	v_dual_mul_f32 v56, 0x3f5db3d7, v50 :: v_dual_fmac_f32 v53, 0x3f5db3d7, v19
	v_dual_fmac_f32 v61, 0x3f5db3d7, v18 :: v_dual_sub_f32 v18, v20, v21
	s_delay_alu instid0(VALU_DEP_2) | instskip(NEXT) | instid1(VALU_DEP_3)
	v_dual_add_f32 v21, v51, v58 :: v_dual_fmac_f32 v56, 0.5, v48
	v_mul_f32_e32 v59, -0.5, v53
	s_delay_alu instid0(VALU_DEP_2) | instskip(SKIP_1) | instid1(VALU_DEP_3)
	v_dual_fmac_f32 v57, 0x3f5db3d7, v53 :: v_dual_sub_f32 v48, v49, v56
	v_add_f32_e32 v20, v49, v56
	v_fmac_f32_e32 v59, 0xbf5db3d7, v52
	s_delay_alu instid0(VALU_DEP_3) | instskip(SKIP_1) | instid1(VALU_DEP_3)
	v_dual_sub_f32 v19, v22, v23 :: v_dual_sub_f32 v50, v60, v57
	v_dual_add_f32 v22, v60, v57 :: v_dual_sub_f32 v49, v51, v58
	v_add_f32_e32 v23, v61, v59
	v_sub_f32_e32 v51, v61, v59
	ds_store_2addr_b64 v47, v[16:17], v[20:21] offset1:18
	ds_store_2addr_b64 v47, v[22:23], v[18:19] offset0:36 offset1:54
	ds_store_2addr_b64 v47, v[48:49], v[50:51] offset0:72 offset1:90
	global_wb scope:SCOPE_SE
	s_wait_dscnt 0x0
	s_barrier_signal -1
	s_barrier_wait -1
	global_inv scope:SCOPE_SE
	s_clause 0x1
	global_load_b128 v[20:23], v54, s[10:11] offset:840
	global_load_b128 v[16:19], v55, s[10:11] offset:840
	ds_load_2addr_b64 v[48:51], v42 offset0:108 offset1:162
	ds_load_2addr_b64 v[52:55], v43 offset0:88 offset1:142
	ds_load_2addr_b64 v[56:59], v42 offset1:54
	s_wait_loadcnt_dscnt 0x102
	v_mul_f32_e32 v60, v49, v21
	s_wait_loadcnt_dscnt 0x1
	v_dual_mul_f32 v61, v48, v21 :: v_dual_mul_f32 v66, v55, v19
	v_mul_f32_e32 v62, v53, v23
	v_mul_f32_e32 v64, v51, v17
	;; [unrolled: 1-line block ×3, first 2 shown]
	v_fma_f32 v48, v48, v20, -v60
	s_delay_alu instid0(VALU_DEP_3) | instskip(SKIP_1) | instid1(VALU_DEP_4)
	v_fma_f32 v50, v50, v16, -v64
	v_mul_f32_e32 v63, v52, v23
	v_fmac_f32_e32 v65, v51, v16
	s_wait_dscnt 0x0
	v_add_f32_e32 v51, v56, v48
	v_fmac_f32_e32 v61, v49, v20
	v_fma_f32 v49, v52, v22, -v62
	v_fma_f32 v52, v54, v18, -v66
	v_dual_mul_f32 v67, v54, v19 :: v_dual_add_f32 v68, v59, v65
	v_add_f32_e32 v62, v58, v50
	v_add_f32_e32 v54, v57, v61
	s_delay_alu instid0(VALU_DEP_4) | instskip(SKIP_1) | instid1(VALU_DEP_4)
	v_dual_add_f32 v64, v50, v52 :: v_dual_fmac_f32 v63, v53, v22
	v_sub_f32_e32 v69, v50, v52
	v_add_f32_e32 v52, v62, v52
	s_delay_alu instid0(VALU_DEP_3) | instskip(SKIP_4) | instid1(VALU_DEP_4)
	v_fma_f32 v58, -0.5, v64, v58
	v_add_f32_e32 v53, v48, v49
	v_fmac_f32_e32 v67, v55, v18
	v_sub_f32_e32 v55, v61, v63
	v_dual_add_f32 v60, v61, v63 :: v_dual_sub_f32 v61, v48, v49
	v_fma_f32 v50, -0.5, v53, v56
	v_dual_add_f32 v48, v51, v49 :: v_dual_add_f32 v49, v54, v63
	s_delay_alu instid0(VALU_DEP_3) | instskip(NEXT) | instid1(VALU_DEP_3)
	v_fma_f32 v51, -0.5, v60, v57
	v_fmamk_f32 v54, v55, 0x3f5db3d7, v50
	v_fmac_f32_e32 v50, 0xbf5db3d7, v55
	v_sub_f32_e32 v66, v65, v67
	s_delay_alu instid0(VALU_DEP_4) | instskip(NEXT) | instid1(VALU_DEP_2)
	v_fmamk_f32 v55, v61, 0xbf5db3d7, v51
	v_dual_fmac_f32 v51, 0x3f5db3d7, v61 :: v_dual_fmamk_f32 v56, v66, 0x3f5db3d7, v58
	v_add_f32_e32 v65, v65, v67
	v_dual_add_f32 v53, v68, v67 :: v_dual_fmac_f32 v58, 0xbf5db3d7, v66
	s_delay_alu instid0(VALU_DEP_2) | instskip(NEXT) | instid1(VALU_DEP_1)
	v_fmac_f32_e32 v59, -0.5, v65
	v_fmamk_f32 v57, v69, 0xbf5db3d7, v59
	v_fmac_f32_e32 v59, 0x3f5db3d7, v69
	ds_store_b64 v42, v[54:55] offset:864
	ds_store_b64 v42, v[50:51] offset:1728
	ds_store_2addr_b64 v42, v[48:49], v[52:53] offset1:54
	ds_store_b64 v42, v[56:57] offset:1296
	ds_store_b64 v42, v[58:59] offset:2160
	global_wb scope:SCOPE_SE
	s_wait_dscnt 0x0
	s_barrier_signal -1
	s_barrier_wait -1
	global_inv scope:SCOPE_SE
	s_clause 0x5
	global_load_b64 v[52:53], v42, s[8:9] offset:2592
	global_load_b64 v[60:61], v42, s[2:3] offset:1296
	;; [unrolled: 1-line block ×6, first 2 shown]
	ds_load_2addr_b64 v[48:51], v42 offset1:54
	s_mov_b32 s2, 0xfcd6e9e0
	s_mov_b32 s3, 0x3f6948b0
	s_wait_loadcnt_dscnt 0x500
	v_mul_f32_e32 v55, v49, v53
	v_mul_f32_e32 v54, v48, v53
	s_delay_alu instid0(VALU_DEP_2) | instskip(NEXT) | instid1(VALU_DEP_2)
	v_fma_f32 v53, v48, v52, -v55
	v_fmac_f32_e32 v54, v49, v52
	s_wait_loadcnt 0x3
	v_mul_f32_e32 v48, v51, v63
	v_mul_f32_e32 v49, v50, v63
	ds_store_b64 v42, v[53:54]
	ds_load_2addr_b64 v[52:55], v42 offset0:108 offset1:162
	ds_load_2addr_b64 v[56:59], v43 offset0:88 offset1:142
	v_fma_f32 v48, v50, v62, -v48
	s_wait_loadcnt_dscnt 0x201
	v_dual_fmac_f32 v49, v51, v62 :: v_dual_mul_f32 v50, v53, v65
	v_mul_f32_e32 v51, v52, v65
	s_wait_loadcnt_dscnt 0x100
	v_mul_f32_e32 v63, v57, v67
	v_mul_f32_e32 v62, v56, v67
	;; [unrolled: 1-line block ×4, first 2 shown]
	s_wait_loadcnt 0x0
	v_mul_f32_e32 v71, v59, v69
	v_mul_f32_e32 v67, v58, v69
	v_fma_f32 v50, v52, v64, -v50
	v_fmac_f32_e32 v51, v53, v64
	v_fma_f32 v61, v56, v66, -v63
	v_fmac_f32_e32 v62, v57, v66
	;; [unrolled: 2-line block ×4, first 2 shown]
	ds_store_2addr_b64 v42, v[48:49], v[50:51] offset0:54 offset1:108
	ds_store_2addr_b64 v42, v[64:65], v[61:62] offset0:162 offset1:216
	ds_store_b64 v42, v[66:67] offset:2160
	global_wb scope:SCOPE_SE
	s_wait_dscnt 0x0
	s_barrier_signal -1
	s_barrier_wait -1
	global_inv scope:SCOPE_SE
	ds_load_2addr_b64 v[48:51], v42 offset1:54
	ds_load_2addr_b64 v[52:55], v42 offset0:108 offset1:162
	ds_load_2addr_b64 v[56:59], v43 offset0:88 offset1:142
	global_wb scope:SCOPE_SE
	s_wait_dscnt 0x0
	s_barrier_signal -1
	s_barrier_wait -1
	global_inv scope:SCOPE_SE
	v_add_f32_e32 v60, v48, v52
	v_dual_add_f32 v61, v52, v56 :: v_dual_add_f32 v64, v53, v57
	v_dual_add_f32 v67, v54, v58 :: v_dual_add_f32 v70, v55, v59
	v_sub_f32_e32 v62, v53, v57
	v_add_f32_e32 v63, v49, v53
	v_sub_f32_e32 v65, v52, v56
	v_fma_f32 v48, -0.5, v61, v48
	v_fma_f32 v49, -0.5, v64, v49
	v_add_f32_e32 v66, v50, v54
	v_sub_f32_e32 v68, v55, v59
	v_add_f32_e32 v69, v51, v55
	v_sub_f32_e32 v71, v54, v58
	v_fma_f32 v50, -0.5, v67, v50
	v_dual_fmac_f32 v51, -0.5, v70 :: v_dual_add_f32 v52, v60, v56
	v_dual_add_f32 v53, v63, v57 :: v_dual_fmamk_f32 v56, v62, 0xbf5db3d7, v48
	v_dual_fmamk_f32 v57, v65, 0x3f5db3d7, v49 :: v_dual_fmac_f32 v48, 0x3f5db3d7, v62
	v_dual_fmac_f32 v49, 0xbf5db3d7, v65 :: v_dual_add_f32 v54, v66, v58
	v_dual_add_f32 v55, v69, v59 :: v_dual_fmamk_f32 v58, v68, 0xbf5db3d7, v50
	v_dual_fmamk_f32 v59, v71, 0x3f5db3d7, v51 :: v_dual_fmac_f32 v50, 0x3f5db3d7, v68
	v_fmac_f32_e32 v51, 0xbf5db3d7, v71
	ds_store_2addr_b64 v46, v[52:53], v[56:57] offset1:1
	ds_store_b64 v46, v[48:49] offset:16
	ds_store_2addr_b64 v45, v[54:55], v[58:59] offset1:1
	ds_store_b64 v45, v[50:51] offset:16
	global_wb scope:SCOPE_SE
	s_wait_dscnt 0x0
	s_barrier_signal -1
	s_barrier_wait -1
	global_inv scope:SCOPE_SE
	ds_load_2addr_b64 v[48:51], v42 offset1:54
	ds_load_2addr_b64 v[52:55], v42 offset0:108 offset1:162
	ds_load_2addr_b64 v[56:59], v43 offset0:88 offset1:142
	global_wb scope:SCOPE_SE
	s_wait_dscnt 0x0
	s_barrier_signal -1
	s_barrier_wait -1
	global_inv scope:SCOPE_SE
	v_mul_f32_e32 v46, v7, v53
	v_dual_mul_f32 v61, v3, v57 :: v_dual_mul_f32 v60, v1, v55
	v_mul_f32_e32 v1, v1, v54
	v_dual_mul_f32 v3, v3, v56 :: v_dual_mul_f32 v62, v38, v59
	v_mul_f32_e32 v38, v38, v58
	v_fmac_f32_e32 v46, v6, v52
	v_fmac_f32_e32 v61, v2, v56
	v_dual_mul_f32 v7, v7, v52 :: v_dual_fmac_f32 v60, v0, v54
	v_fma_f32 v0, v0, v55, -v1
	v_fma_f32 v1, v2, v57, -v3
	;; [unrolled: 1-line block ×3, first 2 shown]
	v_dual_add_f32 v3, v48, v46 :: v_dual_sub_f32 v38, v46, v61
	v_mul_f32_e32 v45, v5, v51
	v_mul_f32_e32 v5, v5, v50
	s_delay_alu instid0(VALU_DEP_3) | instskip(NEXT) | instid1(VALU_DEP_3)
	v_dual_fmac_f32 v62, v37, v58 :: v_dual_add_f32 v3, v3, v61
	v_fmac_f32_e32 v45, v4, v50
	s_delay_alu instid0(VALU_DEP_3) | instskip(SKIP_2) | instid1(VALU_DEP_4)
	v_fma_f32 v4, v4, v51, -v5
	v_fma_f32 v5, v6, v53, -v7
	v_dual_add_f32 v6, v46, v61 :: v_dual_sub_f32 v51, v0, v2
	v_add_f32_e32 v46, v45, v60
	s_delay_alu instid0(VALU_DEP_3)
	v_dual_add_f32 v52, v4, v0 :: v_dual_sub_f32 v7, v5, v1
	v_add_f32_e32 v37, v49, v5
	v_dual_add_f32 v5, v5, v1 :: v_dual_add_f32 v0, v0, v2
	v_add_f32_e32 v50, v60, v62
	v_sub_f32_e32 v53, v60, v62
	v_fma_f32 v48, -0.5, v6, v48
	s_delay_alu instid0(VALU_DEP_4) | instskip(SKIP_2) | instid1(VALU_DEP_4)
	v_fma_f32 v49, -0.5, v5, v49
	v_dual_add_f32 v5, v46, v62 :: v_dual_fmac_f32 v4, -0.5, v0
	v_dual_add_f32 v6, v37, v1 :: v_dual_add_f32 v37, v52, v2
	v_fmamk_f32 v46, v7, 0xbf5db3d7, v48
	s_delay_alu instid0(VALU_DEP_3) | instskip(NEXT) | instid1(VALU_DEP_4)
	v_dual_add_f32 v0, v3, v5 :: v_dual_fmac_f32 v45, -0.5, v50
	v_fmamk_f32 v2, v53, 0x3f5db3d7, v4
	v_fmac_f32_e32 v4, 0xbf5db3d7, v53
	v_fmac_f32_e32 v48, 0x3f5db3d7, v7
	v_fmamk_f32 v50, v38, 0x3f5db3d7, v49
	v_fmac_f32_e32 v49, 0xbf5db3d7, v38
	v_dual_fmamk_f32 v7, v51, 0xbf5db3d7, v45 :: v_dual_mul_f32 v38, 0xbf5db3d7, v2
	v_dual_mul_f32 v52, 0.5, v2 :: v_dual_fmac_f32 v45, 0x3f5db3d7, v51
	v_mul_f32_e32 v51, 0xbf5db3d7, v4
	s_delay_alu instid0(VALU_DEP_3) | instskip(NEXT) | instid1(VALU_DEP_3)
	v_dual_mul_f32 v53, -0.5, v4 :: v_dual_fmac_f32 v38, 0.5, v7
	v_dual_fmac_f32 v52, 0x3f5db3d7, v7 :: v_dual_add_f32 v1, v6, v37
	s_delay_alu instid0(VALU_DEP_3) | instskip(NEXT) | instid1(VALU_DEP_3)
	v_fmac_f32_e32 v51, -0.5, v45
	v_fmac_f32_e32 v53, 0x3f5db3d7, v45
	v_sub_f32_e32 v2, v3, v5
	v_add_f32_e32 v4, v46, v38
	v_add_f32_e32 v5, v50, v52
	v_dual_sub_f32 v3, v6, v37 :: v_dual_add_f32 v6, v48, v51
	v_add_f32_e32 v7, v49, v53
	v_sub_f32_e32 v37, v46, v38
	v_dual_sub_f32 v45, v48, v51 :: v_dual_sub_f32 v38, v50, v52
	v_sub_f32_e32 v46, v49, v53
	ds_store_2addr_b64 v44, v[0:1], v[4:5] offset1:3
	ds_store_2addr_b64 v44, v[6:7], v[2:3] offset0:6 offset1:9
	ds_store_2addr_b64 v44, v[37:38], v[45:46] offset0:12 offset1:15
	global_wb scope:SCOPE_SE
	s_wait_dscnt 0x0
	s_barrier_signal -1
	s_barrier_wait -1
	global_inv scope:SCOPE_SE
	ds_load_2addr_b64 v[0:3], v42 offset1:54
	ds_load_2addr_b64 v[4:7], v42 offset0:108 offset1:162
	ds_load_2addr_b64 v[48:51], v43 offset0:88 offset1:142
	global_wb scope:SCOPE_SE
	s_wait_dscnt 0x0
	s_barrier_signal -1
	s_barrier_wait -1
	global_inv scope:SCOPE_SE
	v_dual_mul_f32 v37, v13, v3 :: v_dual_mul_f32 v38, v15, v5
	v_mul_f32_e32 v44, v9, v7
	v_mul_f32_e32 v9, v9, v6
	;; [unrolled: 1-line block ×3, first 2 shown]
	s_delay_alu instid0(VALU_DEP_4)
	v_dual_mul_f32 v13, v13, v2 :: v_dual_fmac_f32 v38, v14, v4
	v_mul_f32_e32 v15, v15, v4
	v_dual_mul_f32 v11, v11, v48 :: v_dual_mul_f32 v46, v40, v51
	v_mul_f32_e32 v40, v40, v50
	v_fma_f32 v4, v8, v7, -v9
	v_fmac_f32_e32 v45, v10, v48
	v_add_f32_e32 v7, v0, v38
	v_fmac_f32_e32 v44, v8, v6
	v_fma_f32 v6, v39, v51, -v40
	v_fmac_f32_e32 v46, v39, v50
	v_add_f32_e32 v8, v38, v45
	v_add_f32_e32 v7, v7, v45
	v_fmac_f32_e32 v37, v12, v2
	v_fma_f32 v2, v12, v3, -v13
	v_fma_f32 v3, v14, v5, -v15
	;; [unrolled: 1-line block ×3, first 2 shown]
	v_sub_f32_e32 v14, v4, v6
	v_fma_f32 v39, -0.5, v8, v0
	v_dual_add_f32 v15, v2, v4 :: v_dual_add_f32 v4, v4, v6
	s_delay_alu instid0(VALU_DEP_4) | instskip(SKIP_1) | instid1(VALU_DEP_3)
	v_dual_sub_f32 v9, v3, v5 :: v_dual_add_f32 v10, v1, v3
	v_add_f32_e32 v12, v37, v44
	v_add_f32_e32 v6, v15, v6
	s_delay_alu instid0(VALU_DEP_4) | instskip(NEXT) | instid1(VALU_DEP_4)
	v_fmac_f32_e32 v2, -0.5, v4
	v_fmamk_f32 v8, v9, 0xbf5db3d7, v39
	v_fmac_f32_e32 v39, 0x3f5db3d7, v9
	v_sub_f32_e32 v11, v38, v45
	v_add_f32_e32 v13, v44, v46
	v_dual_sub_f32 v38, v44, v46 :: v_dual_add_f32 v3, v3, v5
	v_add_f32_e32 v5, v10, v5
	s_delay_alu instid0(VALU_DEP_2) | instskip(SKIP_1) | instid1(VALU_DEP_4)
	v_dual_fmac_f32 v37, -0.5, v13 :: v_dual_fmamk_f32 v10, v38, 0x3f5db3d7, v2
	v_fmac_f32_e32 v2, 0xbf5db3d7, v38
	v_fma_f32 v40, -0.5, v3, v1
	s_delay_alu instid0(VALU_DEP_3) | instskip(SKIP_1) | instid1(VALU_DEP_4)
	v_dual_add_f32 v3, v12, v46 :: v_dual_fmamk_f32 v4, v14, 0xbf5db3d7, v37
	v_fmac_f32_e32 v37, 0x3f5db3d7, v14
	v_mul_f32_e32 v12, 0xbf5db3d7, v2
	s_delay_alu instid0(VALU_DEP_3) | instskip(SKIP_2) | instid1(VALU_DEP_4)
	v_dual_add_f32 v1, v5, v6 :: v_dual_add_f32 v0, v7, v3
	v_mul_f32_e32 v13, 0.5, v10
	v_mul_f32_e32 v14, -0.5, v2
	v_fmac_f32_e32 v12, -0.5, v37
	v_dual_sub_f32 v2, v7, v3 :: v_dual_sub_f32 v3, v5, v6
	s_delay_alu instid0(VALU_DEP_3) | instskip(NEXT) | instid1(VALU_DEP_3)
	v_dual_fmac_f32 v13, 0x3f5db3d7, v4 :: v_dual_fmac_f32 v14, 0x3f5db3d7, v37
	v_add_f32_e32 v6, v39, v12
	v_fmamk_f32 v9, v11, 0x3f5db3d7, v40
	v_dual_fmac_f32 v40, 0xbf5db3d7, v11 :: v_dual_mul_f32 v11, 0xbf5db3d7, v10
	s_delay_alu instid0(VALU_DEP_2) | instskip(NEXT) | instid1(VALU_DEP_2)
	v_dual_sub_f32 v10, v39, v12 :: v_dual_add_f32 v5, v9, v13
	v_add_f32_e32 v7, v40, v14
	s_delay_alu instid0(VALU_DEP_3) | instskip(NEXT) | instid1(VALU_DEP_1)
	v_fmac_f32_e32 v11, 0.5, v4
	v_dual_sub_f32 v9, v9, v13 :: v_dual_add_f32 v4, v8, v11
	v_sub_f32_e32 v8, v8, v11
	v_sub_f32_e32 v11, v40, v14
	ds_store_2addr_b64 v47, v[0:1], v[4:5] offset1:18
	ds_store_2addr_b64 v47, v[6:7], v[2:3] offset0:36 offset1:54
	ds_store_2addr_b64 v47, v[8:9], v[10:11] offset0:72 offset1:90
	global_wb scope:SCOPE_SE
	s_wait_dscnt 0x0
	s_barrier_signal -1
	s_barrier_wait -1
	global_inv scope:SCOPE_SE
	ds_load_2addr_b64 v[0:3], v42 offset0:108 offset1:162
	ds_load_2addr_b64 v[4:7], v43 offset0:88 offset1:142
	ds_load_2addr_b64 v[8:11], v42 offset1:54
	s_wait_dscnt 0x2
	v_mul_f32_e32 v12, v21, v1
	s_wait_dscnt 0x1
	v_dual_mul_f32 v13, v21, v0 :: v_dual_mul_f32 v14, v23, v5
	v_mul_f32_e32 v15, v23, v4
	v_mul_f32_e32 v21, v17, v3
	;; [unrolled: 1-line block ×4, first 2 shown]
	v_dual_mul_f32 v19, v19, v6 :: v_dual_fmac_f32 v12, v20, v0
	v_fma_f32 v0, v20, v1, -v13
	v_fmac_f32_e32 v14, v22, v4
	v_fma_f32 v1, v22, v5, -v15
	v_fmac_f32_e32 v21, v16, v2
	;; [unrolled: 2-line block ×3, first 2 shown]
	v_fma_f32 v5, v18, v7, -v19
	s_wait_dscnt 0x0
	v_add_f32_e32 v3, v8, v12
	v_add_f32_e32 v4, v12, v14
	v_dual_add_f32 v13, v0, v1 :: v_dual_add_f32 v16, v21, v23
	v_add_f32_e32 v19, v2, v5
	v_dual_sub_f32 v7, v0, v1 :: v_dual_add_f32 v6, v9, v0
	v_dual_sub_f32 v12, v12, v14 :: v_dual_sub_f32 v17, v2, v5
	v_add_f32_e32 v18, v11, v2
	v_add_f32_e32 v0, v3, v14
	v_fma_f32 v2, -0.5, v4, v8
	v_fma_f32 v3, -0.5, v13, v9
	v_dual_add_f32 v15, v10, v21 :: v_dual_sub_f32 v20, v21, v23
	v_fma_f32 v10, -0.5, v16, v10
	v_fmac_f32_e32 v11, -0.5, v19
	v_dual_add_f32 v1, v6, v1 :: v_dual_fmamk_f32 v6, v7, 0xbf5db3d7, v2
	v_dual_fmac_f32 v2, 0x3f5db3d7, v7 :: v_dual_fmamk_f32 v7, v12, 0x3f5db3d7, v3
	v_dual_fmac_f32 v3, 0xbf5db3d7, v12 :: v_dual_add_f32 v4, v15, v23
	v_dual_add_f32 v5, v18, v5 :: v_dual_fmamk_f32 v8, v17, 0xbf5db3d7, v10
	v_dual_fmamk_f32 v9, v20, 0x3f5db3d7, v11 :: v_dual_fmac_f32 v10, 0x3f5db3d7, v17
	v_fmac_f32_e32 v11, 0xbf5db3d7, v20
	ds_store_b64 v42, v[6:7] offset:864
	ds_store_b64 v42, v[2:3] offset:1728
	ds_store_2addr_b64 v42, v[0:1], v[4:5] offset1:54
	ds_store_b64 v42, v[8:9] offset:1296
	ds_store_b64 v42, v[10:11] offset:2160
	global_wb scope:SCOPE_SE
	s_wait_dscnt 0x0
	s_barrier_signal -1
	s_barrier_wait -1
	global_inv scope:SCOPE_SE
	ds_load_2addr_b64 v[0:3], v42 offset1:54
	ds_load_2addr_b64 v[4:7], v42 offset0:108 offset1:162
	ds_load_2addr_b64 v[8:11], v43 offset0:88 offset1:142
	s_wait_dscnt 0x2
	v_mul_f32_e32 v12, v26, v1
	v_mul_f32_e32 v13, v26, v0
	s_wait_dscnt 0x1
	v_mul_f32_e32 v14, v34, v5
	s_wait_dscnt 0x0
	v_dual_mul_f32 v15, v34, v4 :: v_dual_mul_f32 v16, v28, v9
	v_mul_f32_e32 v17, v28, v8
	v_mul_f32_e32 v18, v32, v3
	v_dual_mul_f32 v19, v32, v2 :: v_dual_mul_f32 v20, v30, v7
	v_dual_mul_f32 v21, v30, v6 :: v_dual_mul_f32 v22, v36, v11
	v_dual_mul_f32 v23, v36, v10 :: v_dual_fmac_f32 v12, v25, v0
	v_fma_f32 v13, v25, v1, -v13
	v_fmac_f32_e32 v14, v33, v4
	v_fma_f32 v15, v33, v5, -v15
	v_fmac_f32_e32 v16, v27, v8
	;; [unrolled: 2-line block ×5, first 2 shown]
	v_fma_f32 v23, v35, v11, -v23
	v_cvt_f64_f32_e32 v[0:1], v12
	v_cvt_f64_f32_e32 v[2:3], v13
	v_cvt_f64_f32_e32 v[4:5], v14
	v_cvt_f64_f32_e32 v[6:7], v15
	v_cvt_f64_f32_e32 v[8:9], v16
	v_cvt_f64_f32_e32 v[10:11], v17
	v_cvt_f64_f32_e32 v[12:13], v18
	v_cvt_f64_f32_e32 v[14:15], v19
	v_cvt_f64_f32_e32 v[16:17], v20
	v_cvt_f64_f32_e32 v[18:19], v21
	v_cvt_f64_f32_e32 v[20:21], v22
	v_cvt_f64_f32_e32 v[22:23], v23
	v_mad_co_u64_u32 v[25:26], null, s6, v24, 0
	v_mad_co_u64_u32 v[27:28], null, s4, v41, 0
	s_delay_alu instid0(VALU_DEP_1) | instskip(NEXT) | instid1(VALU_DEP_1)
	v_mad_co_u64_u32 v[29:30], null, s7, v24, v[26:27]
	v_mad_co_u64_u32 v[30:31], null, s5, v41, v[28:29]
	v_mov_b32_e32 v26, v29
	s_delay_alu instid0(VALU_DEP_1) | instskip(NEXT) | instid1(VALU_DEP_3)
	v_lshlrev_b64_e32 v[24:25], 3, v[25:26]
	v_mov_b32_e32 v28, v30
	s_wait_alu 0xfffe
	v_mul_f64_e32 v[0:1], s[2:3], v[0:1]
	v_mul_f64_e32 v[2:3], s[2:3], v[2:3]
	;; [unrolled: 1-line block ×12, first 2 shown]
	v_lshlrev_b64_e32 v[26:27], 3, v[27:28]
	v_add_co_u32 v24, vcc_lo, s0, v24
	s_wait_alu 0xfffd
	v_add_co_ci_u32_e32 v25, vcc_lo, s1, v25, vcc_lo
	s_mul_u64 s[0:1], s[4:5], 0x360
	s_delay_alu instid0(VALU_DEP_2) | instskip(SKIP_1) | instid1(VALU_DEP_2)
	v_add_co_u32 v24, vcc_lo, v24, v26
	s_wait_alu 0xfffd
	v_add_co_ci_u32_e32 v25, vcc_lo, v25, v27, vcc_lo
	s_mul_i32 s2, s5, 0xfffffaf0
	s_wait_alu 0xfffe
	s_sub_co_i32 s2, s2, s4
	v_cvt_f32_f64_e32 v0, v[0:1]
	v_cvt_f32_f64_e32 v1, v[2:3]
	;; [unrolled: 1-line block ×12, first 2 shown]
	v_add_co_u32 v12, vcc_lo, v24, s0
	s_wait_alu 0xfffd
	v_add_co_ci_u32_e32 v13, vcc_lo, s1, v25, vcc_lo
	s_delay_alu instid0(VALU_DEP_2) | instskip(SKIP_1) | instid1(VALU_DEP_2)
	v_add_co_u32 v14, vcc_lo, v12, s0
	s_wait_alu 0xfffd
	v_add_co_ci_u32_e32 v15, vcc_lo, s1, v13, vcc_lo
	s_delay_alu instid0(VALU_DEP_1) | instskip(SKIP_1) | instid1(VALU_DEP_1)
	v_mad_co_u64_u32 v[16:17], null, 0xfffffaf0, s4, v[14:15]
	s_wait_alu 0xfffe
	v_add_nc_u32_e32 v17, s2, v17
	s_delay_alu instid0(VALU_DEP_2) | instskip(SKIP_1) | instid1(VALU_DEP_2)
	v_add_co_u32 v18, vcc_lo, v16, s0
	s_wait_alu 0xfffd
	v_add_co_ci_u32_e32 v19, vcc_lo, s1, v17, vcc_lo
	s_delay_alu instid0(VALU_DEP_2) | instskip(SKIP_1) | instid1(VALU_DEP_2)
	v_add_co_u32 v20, vcc_lo, v18, s0
	s_wait_alu 0xfffd
	v_add_co_ci_u32_e32 v21, vcc_lo, s1, v19, vcc_lo
	s_clause 0x4
	global_store_b64 v[24:25], v[0:1], off
	global_store_b64 v[12:13], v[2:3], off
	;; [unrolled: 1-line block ×6, first 2 shown]
.LBB0_2:
	s_nop 0
	s_sendmsg sendmsg(MSG_DEALLOC_VGPRS)
	s_endpgm
	.section	.rodata,"a",@progbits
	.p2align	6, 0x0
	.amdhsa_kernel bluestein_single_back_len324_dim1_sp_op_CI_CI
		.amdhsa_group_segment_fixed_size 2592
		.amdhsa_private_segment_fixed_size 0
		.amdhsa_kernarg_size 104
		.amdhsa_user_sgpr_count 2
		.amdhsa_user_sgpr_dispatch_ptr 0
		.amdhsa_user_sgpr_queue_ptr 0
		.amdhsa_user_sgpr_kernarg_segment_ptr 1
		.amdhsa_user_sgpr_dispatch_id 0
		.amdhsa_user_sgpr_private_segment_size 0
		.amdhsa_wavefront_size32 1
		.amdhsa_uses_dynamic_stack 0
		.amdhsa_enable_private_segment 0
		.amdhsa_system_sgpr_workgroup_id_x 1
		.amdhsa_system_sgpr_workgroup_id_y 0
		.amdhsa_system_sgpr_workgroup_id_z 0
		.amdhsa_system_sgpr_workgroup_info 0
		.amdhsa_system_vgpr_workitem_id 0
		.amdhsa_next_free_vgpr 72
		.amdhsa_next_free_sgpr 20
		.amdhsa_reserve_vcc 1
		.amdhsa_float_round_mode_32 0
		.amdhsa_float_round_mode_16_64 0
		.amdhsa_float_denorm_mode_32 3
		.amdhsa_float_denorm_mode_16_64 3
		.amdhsa_fp16_overflow 0
		.amdhsa_workgroup_processor_mode 1
		.amdhsa_memory_ordered 1
		.amdhsa_forward_progress 0
		.amdhsa_round_robin_scheduling 0
		.amdhsa_exception_fp_ieee_invalid_op 0
		.amdhsa_exception_fp_denorm_src 0
		.amdhsa_exception_fp_ieee_div_zero 0
		.amdhsa_exception_fp_ieee_overflow 0
		.amdhsa_exception_fp_ieee_underflow 0
		.amdhsa_exception_fp_ieee_inexact 0
		.amdhsa_exception_int_div_zero 0
	.end_amdhsa_kernel
	.text
.Lfunc_end0:
	.size	bluestein_single_back_len324_dim1_sp_op_CI_CI, .Lfunc_end0-bluestein_single_back_len324_dim1_sp_op_CI_CI
                                        ; -- End function
	.section	.AMDGPU.csdata,"",@progbits
; Kernel info:
; codeLenInByte = 5240
; NumSgprs: 22
; NumVgprs: 72
; ScratchSize: 0
; MemoryBound: 0
; FloatMode: 240
; IeeeMode: 1
; LDSByteSize: 2592 bytes/workgroup (compile time only)
; SGPRBlocks: 2
; VGPRBlocks: 8
; NumSGPRsForWavesPerEU: 22
; NumVGPRsForWavesPerEU: 72
; Occupancy: 16
; WaveLimiterHint : 1
; COMPUTE_PGM_RSRC2:SCRATCH_EN: 0
; COMPUTE_PGM_RSRC2:USER_SGPR: 2
; COMPUTE_PGM_RSRC2:TRAP_HANDLER: 0
; COMPUTE_PGM_RSRC2:TGID_X_EN: 1
; COMPUTE_PGM_RSRC2:TGID_Y_EN: 0
; COMPUTE_PGM_RSRC2:TGID_Z_EN: 0
; COMPUTE_PGM_RSRC2:TIDIG_COMP_CNT: 0
	.text
	.p2alignl 7, 3214868480
	.fill 96, 4, 3214868480
	.type	__hip_cuid_106e09b766c480c9,@object ; @__hip_cuid_106e09b766c480c9
	.section	.bss,"aw",@nobits
	.globl	__hip_cuid_106e09b766c480c9
__hip_cuid_106e09b766c480c9:
	.byte	0                               ; 0x0
	.size	__hip_cuid_106e09b766c480c9, 1

	.ident	"AMD clang version 19.0.0git (https://github.com/RadeonOpenCompute/llvm-project roc-6.4.0 25133 c7fe45cf4b819c5991fe208aaa96edf142730f1d)"
	.section	".note.GNU-stack","",@progbits
	.addrsig
	.addrsig_sym __hip_cuid_106e09b766c480c9
	.amdgpu_metadata
---
amdhsa.kernels:
  - .args:
      - .actual_access:  read_only
        .address_space:  global
        .offset:         0
        .size:           8
        .value_kind:     global_buffer
      - .actual_access:  read_only
        .address_space:  global
        .offset:         8
        .size:           8
        .value_kind:     global_buffer
      - .actual_access:  read_only
        .address_space:  global
        .offset:         16
        .size:           8
        .value_kind:     global_buffer
      - .actual_access:  read_only
        .address_space:  global
        .offset:         24
        .size:           8
        .value_kind:     global_buffer
      - .actual_access:  read_only
        .address_space:  global
        .offset:         32
        .size:           8
        .value_kind:     global_buffer
      - .offset:         40
        .size:           8
        .value_kind:     by_value
      - .address_space:  global
        .offset:         48
        .size:           8
        .value_kind:     global_buffer
      - .address_space:  global
        .offset:         56
        .size:           8
        .value_kind:     global_buffer
      - .address_space:  global
        .offset:         64
        .size:           8
        .value_kind:     global_buffer
      - .address_space:  global
        .offset:         72
        .size:           8
        .value_kind:     global_buffer
      - .offset:         80
        .size:           4
        .value_kind:     by_value
      - .address_space:  global
        .offset:         88
        .size:           8
        .value_kind:     global_buffer
      - .address_space:  global
        .offset:         96
        .size:           8
        .value_kind:     global_buffer
    .group_segment_fixed_size: 2592
    .kernarg_segment_align: 8
    .kernarg_segment_size: 104
    .language:       OpenCL C
    .language_version:
      - 2
      - 0
    .max_flat_workgroup_size: 54
    .name:           bluestein_single_back_len324_dim1_sp_op_CI_CI
    .private_segment_fixed_size: 0
    .sgpr_count:     22
    .sgpr_spill_count: 0
    .symbol:         bluestein_single_back_len324_dim1_sp_op_CI_CI.kd
    .uniform_work_group_size: 1
    .uses_dynamic_stack: false
    .vgpr_count:     72
    .vgpr_spill_count: 0
    .wavefront_size: 32
    .workgroup_processor_mode: 1
amdhsa.target:   amdgcn-amd-amdhsa--gfx1201
amdhsa.version:
  - 1
  - 2
...

	.end_amdgpu_metadata
